;; amdgpu-corpus repo=ROCm/rocFFT kind=compiled arch=gfx906 opt=O3
	.text
	.amdgcn_target "amdgcn-amd-amdhsa--gfx906"
	.amdhsa_code_object_version 6
	.protected	fft_rtc_back_len1152_factors_4_3_8_3_4_wgs_144_tpt_144_halfLds_sp_ip_CI_unitstride_sbrr_dirReg ; -- Begin function fft_rtc_back_len1152_factors_4_3_8_3_4_wgs_144_tpt_144_halfLds_sp_ip_CI_unitstride_sbrr_dirReg
	.globl	fft_rtc_back_len1152_factors_4_3_8_3_4_wgs_144_tpt_144_halfLds_sp_ip_CI_unitstride_sbrr_dirReg
	.p2align	8
	.type	fft_rtc_back_len1152_factors_4_3_8_3_4_wgs_144_tpt_144_halfLds_sp_ip_CI_unitstride_sbrr_dirReg,@function
fft_rtc_back_len1152_factors_4_3_8_3_4_wgs_144_tpt_144_halfLds_sp_ip_CI_unitstride_sbrr_dirReg: ; @fft_rtc_back_len1152_factors_4_3_8_3_4_wgs_144_tpt_144_halfLds_sp_ip_CI_unitstride_sbrr_dirReg
; %bb.0:
	s_load_dwordx2 s[12:13], s[4:5], 0x50
	s_load_dwordx4 s[8:11], s[4:5], 0x0
	s_load_dwordx2 s[2:3], s[4:5], 0x18
	v_mul_u32_u24_e32 v1, 0x1c8, v0
	v_add_u32_sdwa v5, s6, v1 dst_sel:DWORD dst_unused:UNUSED_PAD src0_sel:DWORD src1_sel:WORD_1
	v_mov_b32_e32 v3, 0
	s_waitcnt lgkmcnt(0)
	v_cmp_lt_u64_e64 s[0:1], s[10:11], 2
	v_mov_b32_e32 v1, 0
	v_mov_b32_e32 v6, v3
	s_and_b64 vcc, exec, s[0:1]
	v_mov_b32_e32 v2, 0
	s_cbranch_vccnz .LBB0_8
; %bb.1:
	s_load_dwordx2 s[0:1], s[4:5], 0x10
	s_add_u32 s6, s2, 8
	s_addc_u32 s7, s3, 0
	v_mov_b32_e32 v1, 0
	v_mov_b32_e32 v2, 0
	s_waitcnt lgkmcnt(0)
	s_add_u32 s14, s0, 8
	s_addc_u32 s15, s1, 0
	s_mov_b64 s[16:17], 1
.LBB0_2:                                ; =>This Inner Loop Header: Depth=1
	s_load_dwordx2 s[18:19], s[14:15], 0x0
                                        ; implicit-def: $vgpr7_vgpr8
	s_waitcnt lgkmcnt(0)
	v_or_b32_e32 v4, s19, v6
	v_cmp_ne_u64_e32 vcc, 0, v[3:4]
	s_and_saveexec_b64 s[0:1], vcc
	s_xor_b64 s[20:21], exec, s[0:1]
	s_cbranch_execz .LBB0_4
; %bb.3:                                ;   in Loop: Header=BB0_2 Depth=1
	v_cvt_f32_u32_e32 v4, s18
	v_cvt_f32_u32_e32 v7, s19
	s_sub_u32 s0, 0, s18
	s_subb_u32 s1, 0, s19
	v_mac_f32_e32 v4, 0x4f800000, v7
	v_rcp_f32_e32 v4, v4
	v_mul_f32_e32 v4, 0x5f7ffffc, v4
	v_mul_f32_e32 v7, 0x2f800000, v4
	v_trunc_f32_e32 v7, v7
	v_mac_f32_e32 v4, 0xcf800000, v7
	v_cvt_u32_f32_e32 v7, v7
	v_cvt_u32_f32_e32 v4, v4
	v_mul_lo_u32 v8, s0, v7
	v_mul_hi_u32 v9, s0, v4
	v_mul_lo_u32 v11, s1, v4
	v_mul_lo_u32 v10, s0, v4
	v_add_u32_e32 v8, v9, v8
	v_add_u32_e32 v8, v8, v11
	v_mul_hi_u32 v9, v4, v10
	v_mul_lo_u32 v11, v4, v8
	v_mul_hi_u32 v13, v4, v8
	v_mul_hi_u32 v12, v7, v10
	v_mul_lo_u32 v10, v7, v10
	v_mul_hi_u32 v14, v7, v8
	v_add_co_u32_e32 v9, vcc, v9, v11
	v_addc_co_u32_e32 v11, vcc, 0, v13, vcc
	v_mul_lo_u32 v8, v7, v8
	v_add_co_u32_e32 v9, vcc, v9, v10
	v_addc_co_u32_e32 v9, vcc, v11, v12, vcc
	v_addc_co_u32_e32 v10, vcc, 0, v14, vcc
	v_add_co_u32_e32 v8, vcc, v9, v8
	v_addc_co_u32_e32 v9, vcc, 0, v10, vcc
	v_add_co_u32_e32 v4, vcc, v4, v8
	v_addc_co_u32_e32 v7, vcc, v7, v9, vcc
	v_mul_lo_u32 v8, s0, v7
	v_mul_hi_u32 v9, s0, v4
	v_mul_lo_u32 v10, s1, v4
	v_mul_lo_u32 v11, s0, v4
	v_add_u32_e32 v8, v9, v8
	v_add_u32_e32 v8, v8, v10
	v_mul_lo_u32 v12, v4, v8
	v_mul_hi_u32 v13, v4, v11
	v_mul_hi_u32 v14, v4, v8
	;; [unrolled: 1-line block ×3, first 2 shown]
	v_mul_lo_u32 v11, v7, v11
	v_mul_hi_u32 v9, v7, v8
	v_add_co_u32_e32 v12, vcc, v13, v12
	v_addc_co_u32_e32 v13, vcc, 0, v14, vcc
	v_mul_lo_u32 v8, v7, v8
	v_add_co_u32_e32 v11, vcc, v12, v11
	v_addc_co_u32_e32 v10, vcc, v13, v10, vcc
	v_addc_co_u32_e32 v9, vcc, 0, v9, vcc
	v_add_co_u32_e32 v8, vcc, v10, v8
	v_addc_co_u32_e32 v9, vcc, 0, v9, vcc
	v_add_co_u32_e32 v4, vcc, v4, v8
	v_addc_co_u32_e32 v9, vcc, v7, v9, vcc
	v_mad_u64_u32 v[7:8], s[0:1], v5, v9, 0
	v_mul_hi_u32 v10, v5, v4
	v_add_co_u32_e32 v11, vcc, v10, v7
	v_addc_co_u32_e32 v12, vcc, 0, v8, vcc
	v_mad_u64_u32 v[7:8], s[0:1], v6, v4, 0
	v_mad_u64_u32 v[9:10], s[0:1], v6, v9, 0
	v_add_co_u32_e32 v4, vcc, v11, v7
	v_addc_co_u32_e32 v4, vcc, v12, v8, vcc
	v_addc_co_u32_e32 v7, vcc, 0, v10, vcc
	v_add_co_u32_e32 v4, vcc, v4, v9
	v_addc_co_u32_e32 v9, vcc, 0, v7, vcc
	v_mul_lo_u32 v10, s19, v4
	v_mul_lo_u32 v11, s18, v9
	v_mad_u64_u32 v[7:8], s[0:1], s18, v4, 0
	v_add3_u32 v8, v8, v11, v10
	v_sub_u32_e32 v10, v6, v8
	v_mov_b32_e32 v11, s19
	v_sub_co_u32_e32 v7, vcc, v5, v7
	v_subb_co_u32_e64 v10, s[0:1], v10, v11, vcc
	v_subrev_co_u32_e64 v11, s[0:1], s18, v7
	v_subbrev_co_u32_e64 v10, s[0:1], 0, v10, s[0:1]
	v_cmp_le_u32_e64 s[0:1], s19, v10
	v_cndmask_b32_e64 v12, 0, -1, s[0:1]
	v_cmp_le_u32_e64 s[0:1], s18, v11
	v_cndmask_b32_e64 v11, 0, -1, s[0:1]
	v_cmp_eq_u32_e64 s[0:1], s19, v10
	v_cndmask_b32_e64 v10, v12, v11, s[0:1]
	v_add_co_u32_e64 v11, s[0:1], 2, v4
	v_addc_co_u32_e64 v12, s[0:1], 0, v9, s[0:1]
	v_add_co_u32_e64 v13, s[0:1], 1, v4
	v_addc_co_u32_e64 v14, s[0:1], 0, v9, s[0:1]
	v_subb_co_u32_e32 v8, vcc, v6, v8, vcc
	v_cmp_ne_u32_e64 s[0:1], 0, v10
	v_cmp_le_u32_e32 vcc, s19, v8
	v_cndmask_b32_e64 v10, v14, v12, s[0:1]
	v_cndmask_b32_e64 v12, 0, -1, vcc
	v_cmp_le_u32_e32 vcc, s18, v7
	v_cndmask_b32_e64 v7, 0, -1, vcc
	v_cmp_eq_u32_e32 vcc, s19, v8
	v_cndmask_b32_e32 v7, v12, v7, vcc
	v_cmp_ne_u32_e32 vcc, 0, v7
	v_cndmask_b32_e64 v7, v13, v11, s[0:1]
	v_cndmask_b32_e32 v8, v9, v10, vcc
	v_cndmask_b32_e32 v7, v4, v7, vcc
.LBB0_4:                                ;   in Loop: Header=BB0_2 Depth=1
	s_andn2_saveexec_b64 s[0:1], s[20:21]
	s_cbranch_execz .LBB0_6
; %bb.5:                                ;   in Loop: Header=BB0_2 Depth=1
	v_cvt_f32_u32_e32 v4, s18
	s_sub_i32 s20, 0, s18
	v_rcp_iflag_f32_e32 v4, v4
	v_mul_f32_e32 v4, 0x4f7ffffe, v4
	v_cvt_u32_f32_e32 v4, v4
	v_mul_lo_u32 v7, s20, v4
	v_mul_hi_u32 v7, v4, v7
	v_add_u32_e32 v4, v4, v7
	v_mul_hi_u32 v4, v5, v4
	v_mul_lo_u32 v7, v4, s18
	v_add_u32_e32 v8, 1, v4
	v_sub_u32_e32 v7, v5, v7
	v_subrev_u32_e32 v9, s18, v7
	v_cmp_le_u32_e32 vcc, s18, v7
	v_cndmask_b32_e32 v7, v7, v9, vcc
	v_cndmask_b32_e32 v4, v4, v8, vcc
	v_add_u32_e32 v8, 1, v4
	v_cmp_le_u32_e32 vcc, s18, v7
	v_cndmask_b32_e32 v7, v4, v8, vcc
	v_mov_b32_e32 v8, v3
.LBB0_6:                                ;   in Loop: Header=BB0_2 Depth=1
	s_or_b64 exec, exec, s[0:1]
	v_mul_lo_u32 v4, v8, s18
	v_mul_lo_u32 v11, v7, s19
	v_mad_u64_u32 v[9:10], s[0:1], v7, s18, 0
	s_load_dwordx2 s[0:1], s[6:7], 0x0
	s_add_u32 s16, s16, 1
	v_add3_u32 v4, v10, v11, v4
	v_sub_co_u32_e32 v5, vcc, v5, v9
	v_subb_co_u32_e32 v4, vcc, v6, v4, vcc
	s_waitcnt lgkmcnt(0)
	v_mul_lo_u32 v4, s0, v4
	v_mul_lo_u32 v6, s1, v5
	v_mad_u64_u32 v[1:2], s[0:1], s0, v5, v[1:2]
	s_addc_u32 s17, s17, 0
	s_add_u32 s6, s6, 8
	v_add3_u32 v2, v6, v2, v4
	v_mov_b32_e32 v4, s10
	v_mov_b32_e32 v5, s11
	s_addc_u32 s7, s7, 0
	v_cmp_ge_u64_e32 vcc, s[16:17], v[4:5]
	s_add_u32 s14, s14, 8
	s_addc_u32 s15, s15, 0
	s_cbranch_vccnz .LBB0_9
; %bb.7:                                ;   in Loop: Header=BB0_2 Depth=1
	v_mov_b32_e32 v5, v7
	v_mov_b32_e32 v6, v8
	s_branch .LBB0_2
.LBB0_8:
	v_mov_b32_e32 v8, v6
	v_mov_b32_e32 v7, v5
.LBB0_9:
	s_lshl_b64 s[0:1], s[10:11], 3
	s_add_u32 s0, s2, s0
	s_addc_u32 s1, s3, s1
	s_load_dwordx2 s[2:3], s[0:1], 0x0
	s_load_dwordx2 s[6:7], s[4:5], 0x20
                                        ; implicit-def: $vgpr10
                                        ; implicit-def: $vgpr23
                                        ; implicit-def: $vgpr19
                                        ; implicit-def: $vgpr14
	s_waitcnt lgkmcnt(0)
	v_mad_u64_u32 v[5:6], s[0:1], s2, v7, v[1:2]
	s_mov_b32 s0, 0x1c71c72
	v_mul_hi_u32 v1, v0, s0
	v_mul_lo_u32 v3, s2, v8
	v_mul_lo_u32 v4, s3, v7
	v_cmp_gt_u64_e64 s[0:1], s[6:7], v[7:8]
	v_mul_u32_u24_e32 v1, 0x90, v1
	v_add3_u32 v6, v4, v6, v3
	v_sub_u32_e32 v4, v0, v1
	v_mov_b32_e32 v1, 0
	v_mov_b32_e32 v2, 0
	v_lshlrev_b64 v[6:7], 3, v[5:6]
	v_mov_b32_e32 v21, v2
	v_mov_b32_e32 v17, v2
	;; [unrolled: 1-line block ×6, first 2 shown]
	s_and_saveexec_b64 s[2:3], s[0:1]
	s_cbranch_execz .LBB0_11
; %bb.10:
	v_mov_b32_e32 v5, 0
	v_mov_b32_e32 v0, s13
	v_add_co_u32_e32 v2, vcc, s12, v6
	v_addc_co_u32_e32 v3, vcc, v0, v7, vcc
	v_lshlrev_b64 v[0:1], 3, v[4:5]
	v_add_co_u32_e32 v24, vcc, v2, v0
	v_addc_co_u32_e32 v25, vcc, v3, v1, vcc
	v_add_co_u32_e32 v26, vcc, 0x1000, v24
	v_addc_co_u32_e32 v27, vcc, 0, v25, vcc
	global_load_dwordx2 v[1:2], v[24:25], off
	global_load_dwordx2 v[9:10], v[26:27], off offset:512
	global_load_dwordx2 v[11:12], v[24:25], off offset:3456
	;; [unrolled: 1-line block ×7, first 2 shown]
.LBB0_11:
	s_or_b64 exec, exec, s[2:3]
	s_waitcnt vmcnt(6)
	v_sub_f32_e32 v5, v1, v9
	s_waitcnt vmcnt(1)
	v_sub_f32_e32 v3, v20, v22
	v_sub_f32_e32 v23, v21, v23
	v_fma_f32 v8, v1, 2.0, -v5
	v_fma_f32 v0, v20, 2.0, -v3
	v_sub_f32_e32 v0, v8, v0
	v_add_f32_e32 v1, v5, v23
	v_fma_f32 v8, v8, 2.0, -v0
	v_fma_f32 v9, v5, 2.0, -v1
	v_lshl_add_u32 v20, v4, 4, 0
	v_sub_f32_e32 v25, v11, v13
	v_sub_f32_e32 v26, v12, v14
	s_waitcnt vmcnt(0)
	v_sub_f32_e32 v5, v16, v18
	ds_write2_b64 v20, v[8:9], v[0:1] offset1:1
	v_fma_f32 v8, v16, 2.0, -v5
	v_fma_f32 v0, v11, 2.0, -v25
	v_add_f32_e32 v1, v5, v26
	v_sub_f32_e32 v0, v8, v0
	v_fma_f32 v9, v5, 2.0, -v1
	v_add_u32_e32 v22, 0x90, v4
	v_mad_i32_i24 v5, v4, -12, v20
	v_fma_f32 v8, v8, 2.0, -v0
	v_lshl_add_u32 v11, v22, 4, 0
	v_add_u32_e32 v13, 0x600, v5
	v_add_u32_e32 v14, 0xc00, v5
	ds_write2_b64 v11, v[8:9], v[0:1] offset1:1
	s_waitcnt lgkmcnt(0)
	s_barrier
	ds_read2_b32 v[8:9], v5 offset1:144
	ds_read2_b32 v[15:16], v13 offset1:144
	;; [unrolled: 1-line block ×3, first 2 shown]
	s_movk_i32 s2, 0x60
	v_mul_i32_i24_e32 v5, -12, v4
	v_cmp_gt_u32_e32 vcc, s2, v4
	v_add_u32_e32 v5, v20, v5
                                        ; implicit-def: $vgpr24
	s_and_saveexec_b64 s[2:3], vcc
	s_cbranch_execz .LBB0_13
; %bb.12:
	v_add_u32_e32 v0, 0x80, v5
	ds_read2st64_b32 v[0:1], v0 offset0:4 offset1:10
	ds_read_b32 v24, v5 offset:4224
.LBB0_13:
	s_or_b64 exec, exec, s[2:3]
	v_sub_f32_e32 v10, v2, v10
	v_fma_f32 v2, v2, 2.0, -v10
	v_fma_f32 v18, v21, 2.0, -v23
	v_sub_f32_e32 v28, v10, v3
	v_sub_f32_e32 v27, v2, v18
	v_fma_f32 v30, v10, 2.0, -v28
	v_sub_f32_e32 v10, v17, v19
	v_fma_f32 v29, v2, 2.0, -v27
	v_fma_f32 v3, v17, 2.0, -v10
	;; [unrolled: 1-line block ×3, first 2 shown]
	v_sub_f32_e32 v2, v3, v2
	v_fma_f32 v17, v3, 2.0, -v2
	v_sub_f32_e32 v3, v10, v25
	v_fma_f32 v18, v10, 2.0, -v3
	v_add_u32_e32 v10, 0x600, v5
	s_waitcnt lgkmcnt(0)
	s_barrier
	ds_write2_b64 v20, v[29:30], v[27:28] offset1:1
	ds_write2_b64 v11, v[17:18], v[2:3] offset1:1
	s_waitcnt lgkmcnt(0)
	s_barrier
	ds_read2_b32 v[19:20], v10 offset1:144
	v_add_u32_e32 v10, 0xc00, v5
	ds_read2_b32 v[11:12], v5 offset1:144
	ds_read2_b32 v[17:18], v10 offset1:144
                                        ; implicit-def: $vgpr10
	s_and_saveexec_b64 s[2:3], vcc
	s_cbranch_execz .LBB0_15
; %bb.14:
	v_add_u32_e32 v2, 0x80, v5
	ds_read2st64_b32 v[2:3], v2 offset0:4 offset1:10
	ds_read_b32 v10, v5 offset:4224
.LBB0_15:
	s_or_b64 exec, exec, s[2:3]
	v_and_b32_e32 v26, 3, v4
	v_lshlrev_b32_e32 v21, 4, v26
	global_load_dwordx4 v[33:36], v21, s[8:9]
	v_lshrrev_b32_e32 v21, 2, v4
	v_lshrrev_b32_e32 v25, 2, v22
	v_mul_u32_u24_e32 v21, 12, v21
	v_mul_u32_u24_e32 v25, 12, v25
	v_or_b32_e32 v21, v21, v26
	v_or_b32_e32 v25, v25, v26
	v_lshl_add_u32 v28, v21, 2, 0
	v_lshl_add_u32 v27, v25, 2, 0
	v_add_u32_e32 v23, 0x120, v4
	s_waitcnt vmcnt(0) lgkmcnt(0)
	s_barrier
	v_mul_f32_e32 v30, v19, v34
	v_mul_f32_e32 v25, v20, v34
	;; [unrolled: 1-line block ×5, first 2 shown]
	v_fmac_f32_e32 v30, v15, v33
	v_fmac_f32_e32 v25, v16, v33
	v_mul_f32_e32 v29, v18, v36
	v_mul_f32_e32 v16, v13, v36
	v_fma_f32 v32, v19, v33, -v21
	v_fma_f32 v19, v20, v33, -v37
	v_mul_f32_e32 v20, v14, v36
	v_mul_f32_e32 v15, v10, v36
	v_fmac_f32_e32 v31, v13, v35
	v_mul_f32_e32 v21, v24, v36
	v_mul_f32_e32 v13, v3, v34
	v_fmac_f32_e32 v29, v14, v35
	v_fma_f32 v17, v17, v35, -v16
	v_fma_f32 v14, v18, v35, -v20
	v_mul_f32_e32 v18, v1, v34
	v_fmac_f32_e32 v15, v24, v35
	v_fma_f32 v16, v10, v35, -v21
	v_fmac_f32_e32 v13, v1, v33
	v_add_f32_e32 v10, v30, v31
	v_fma_f32 v1, v3, v33, -v18
	v_add_f32_e32 v21, v25, v29
	v_add_f32_e32 v33, v13, v15
	v_fma_f32 v34, -0.5, v10, v8
	v_add_f32_e32 v3, v8, v30
	v_sub_f32_e32 v18, v32, v17
	v_add_f32_e32 v20, v9, v25
	v_fmac_f32_e32 v9, -0.5, v21
	v_mov_b32_e32 v35, v34
	v_fma_f32 v8, -0.5, v33, v0
	v_sub_f32_e32 v24, v19, v14
	v_fmac_f32_e32 v34, 0x3f5db3d7, v18
	v_fmac_f32_e32 v35, 0xbf5db3d7, v18
	v_sub_f32_e32 v10, v1, v16
	v_add_f32_e32 v3, v3, v31
	v_add_f32_e32 v18, v20, v29
	v_mov_b32_e32 v20, v9
	v_mov_b32_e32 v21, v8
	ds_write_b32 v28, v34 offset:32
	v_fmac_f32_e32 v9, 0x3f5db3d7, v24
	v_fmac_f32_e32 v20, 0xbf5db3d7, v24
	;; [unrolled: 1-line block ×3, first 2 shown]
	ds_write2_b32 v28, v3, v35 offset1:4
	ds_write2_b32 v27, v18, v20 offset1:4
	ds_write_b32 v27, v9 offset:32
	v_lshrrev_b32_e32 v3, 2, v23
	s_and_saveexec_b64 s[2:3], vcc
	s_cbranch_execz .LBB0_17
; %bb.16:
	v_mul_f32_e32 v9, 0x3f5db3d7, v10
	v_mul_u32_u24_e32 v10, 12, v3
	v_or_b32_e32 v10, v10, v26
	v_add_f32_e32 v0, v0, v13
	v_lshl_add_u32 v10, v10, 2, 0
	v_sub_f32_e32 v8, v8, v9
	v_add_f32_e32 v0, v0, v15
	ds_write2_b32 v10, v0, v8 offset1:4
	ds_write_b32 v10, v21 offset:32
.LBB0_17:
	s_or_b64 exec, exec, s[2:3]
	v_add_f32_e32 v0, v11, v32
	v_add_f32_e32 v33, v0, v17
	;; [unrolled: 1-line block ×3, first 2 shown]
	v_fma_f32 v32, -0.5, v0, v11
	v_sub_f32_e32 v0, v30, v31
	v_mov_b32_e32 v30, v32
	v_fmac_f32_e32 v30, 0x3f5db3d7, v0
	v_fmac_f32_e32 v32, 0xbf5db3d7, v0
	v_add_f32_e32 v0, v12, v19
	v_add_f32_e32 v31, v0, v14
	;; [unrolled: 1-line block ×3, first 2 shown]
	v_fmac_f32_e32 v12, -0.5, v0
	v_sub_f32_e32 v0, v25, v29
	v_mov_b32_e32 v29, v12
	v_fmac_f32_e32 v29, 0x3f5db3d7, v0
	v_fmac_f32_e32 v12, 0xbf5db3d7, v0
	v_add_f32_e32 v0, v1, v16
	v_fma_f32 v17, -0.5, v0, v2
	v_sub_f32_e32 v18, v13, v15
	v_add_u32_e32 v0, 0x400, v5
	v_add_u32_e32 v15, 0x800, v5
	;; [unrolled: 1-line block ×3, first 2 shown]
	s_waitcnt lgkmcnt(0)
	s_barrier
	ds_read2_b32 v[8:9], v5 offset1:144
	ds_read2_b32 v[13:14], v0 offset0:32 offset1:176
	ds_read2_b32 v[10:11], v15 offset0:64 offset1:208
	;; [unrolled: 1-line block ×3, first 2 shown]
	v_mov_b32_e32 v24, v17
	v_fmac_f32_e32 v24, 0xbf5db3d7, v18
	s_waitcnt lgkmcnt(0)
	s_barrier
	ds_write2_b32 v28, v33, v30 offset1:4
	ds_write_b32 v28, v32 offset:32
	ds_write2_b32 v27, v31, v29 offset1:4
	ds_write_b32 v27, v12 offset:32
	s_and_saveexec_b64 s[2:3], vcc
	s_cbranch_execz .LBB0_19
; %bb.18:
	v_mul_u32_u24_e32 v3, 12, v3
	v_mul_f32_e32 v12, 0x3f5db3d7, v18
	v_add_f32_e32 v1, v2, v1
	v_or_b32_e32 v3, v3, v26
	v_add_f32_e32 v1, v1, v16
	v_add_f32_e32 v2, v12, v17
	v_lshl_add_u32 v3, v3, 2, 0
	ds_write2_b32 v3, v1, v2 offset1:4
	ds_write_b32 v3, v24 offset:32
.LBB0_19:
	s_or_b64 exec, exec, s[2:3]
	s_movk_i32 s2, 0xab
	v_mul_lo_u16_sdwa v1, v4, s2 dst_sel:DWORD dst_unused:UNUSED_PAD src0_sel:BYTE_0 src1_sel:DWORD
	v_lshrrev_b16_e32 v36, 11, v1
	v_mul_lo_u16_e32 v1, 12, v36
	v_sub_u16_e32 v37, v4, v1
	v_mov_b32_e32 v1, 7
	v_mul_u32_u24_sdwa v1, v37, v1 dst_sel:DWORD dst_unused:UNUSED_PAD src0_sel:BYTE_0 src1_sel:DWORD
	v_lshlrev_b32_e32 v12, 3, v1
	s_waitcnt lgkmcnt(0)
	s_barrier
	global_load_dwordx4 v[26:29], v12, s[8:9] offset:64
	global_load_dwordx4 v[30:33], v12, s[8:9] offset:96
	ds_read2_b32 v[16:17], v5 offset1:144
	ds_read2_b32 v[34:35], v0 offset0:32 offset1:176
	global_load_dwordx4 v[0:3], v12, s[8:9] offset:80
	s_waitcnt vmcnt(2) lgkmcnt(0)
	v_mul_f32_e32 v39, v34, v29
	v_mul_f32_e32 v38, v17, v27
	;; [unrolled: 1-line block ×4, first 2 shown]
	v_fmac_f32_e32 v39, v13, v28
	global_load_dwordx2 v[12:13], v12, s[8:9] offset:112
	v_fmac_f32_e32 v38, v9, v26
	v_fma_f32 v9, v17, v26, -v18
	ds_read2_b32 v[17:18], v15 offset0:64 offset1:208
	v_fma_f32 v26, v34, v28, -v27
	s_waitcnt vmcnt(2)
	v_mul_f32_e32 v27, v11, v31
	s_waitcnt lgkmcnt(0)
	v_fma_f32 v29, v18, v30, -v27
	ds_read2_b32 v[27:28], v25 offset0:96 offset1:240
	v_mul_f32_e32 v15, v18, v31
	v_fmac_f32_e32 v15, v11, v30
	v_mul_f32_e32 v11, v19, v33
	s_waitcnt lgkmcnt(0)
	v_mul_f32_e32 v30, v27, v33
	v_fmac_f32_e32 v30, v19, v32
	s_waitcnt vmcnt(1)
	v_mul_f32_e32 v19, v17, v3
	v_fma_f32 v27, v27, v32, -v11
	v_fmac_f32_e32 v19, v10, v2
	v_mul_u32_u24_e32 v11, 0x60, v36
	v_or_b32_sdwa v11, v11, v37 dst_sel:DWORD dst_unused:UNUSED_PAD src0_sel:DWORD src1_sel:BYTE_0
	v_lshl_add_u32 v11, v11, 2, 0
	s_waitcnt vmcnt(0)
	s_barrier
	v_add_u32_e32 v18, 0x600, v5
	v_mul_f32_e32 v31, v28, v13
	v_mul_f32_e32 v13, v20, v13
	v_fmac_f32_e32 v31, v20, v12
	v_fma_f32 v12, v28, v12, -v13
	v_mul_f32_e32 v13, v35, v1
	v_mul_f32_e32 v1, v14, v1
	v_fmac_f32_e32 v13, v14, v0
	v_fma_f32 v0, v35, v0, -v1
	v_sub_f32_e32 v1, v8, v19
	v_sub_f32_e32 v20, v26, v27
	;; [unrolled: 1-line block ×7, first 2 shown]
	v_fma_f32 v27, v9, 2.0, -v15
	v_fma_f32 v9, v13, 2.0, -v28
	v_add_f32_e32 v13, v1, v20
	v_fma_f32 v8, v8, 2.0, -v1
	v_fma_f32 v29, v39, 2.0, -v19
	;; [unrolled: 1-line block ×4, first 2 shown]
	v_add_f32_e32 v31, v14, v12
	v_fma_f32 v33, v1, 2.0, -v13
	v_sub_f32_e32 v32, v15, v28
	v_sub_f32_e32 v12, v8, v29
	;; [unrolled: 1-line block ×4, first 2 shown]
	v_fma_f32 v34, v14, 2.0, -v31
	v_mov_b32_e32 v1, v13
	v_mov_b32_e32 v14, v33
	v_fma_f32 v35, v15, 2.0, -v32
	v_fmac_f32_e32 v1, 0x3f3504f3, v31
	v_fma_f32 v8, v8, 2.0, -v12
	v_fma_f32 v9, v30, 2.0, -v28
	v_add_f32_e32 v0, v12, v29
	v_fmac_f32_e32 v14, 0xbf3504f3, v34
	v_fmac_f32_e32 v1, 0x3f3504f3, v32
	v_fma_f32 v12, v12, 2.0, -v0
	v_sub_f32_e32 v9, v8, v9
	v_fmac_f32_e32 v14, 0x3f3504f3, v35
	v_fma_f32 v13, v13, 2.0, -v1
	v_fma_f32 v8, v8, 2.0, -v9
	ds_write2_b32 v11, v0, v1 offset0:72 offset1:84
	ds_write2_b32 v11, v12, v13 offset0:24 offset1:36
	v_fma_f32 v12, v33, 2.0, -v14
	ds_write2_b32 v11, v9, v14 offset0:48 offset1:60
	ds_write2_b32 v11, v8, v12 offset1:12
	s_waitcnt lgkmcnt(0)
	s_barrier
	ds_read2_b32 v[8:9], v5 offset1:144
	ds_read2_b32 v[14:15], v18 offset1:144
	;; [unrolled: 1-line block ×3, first 2 shown]
	v_mul_f32_e32 v25, 0x3f3504f3, v31
	v_mul_f32_e32 v30, 0x3f3504f3, v32
	;; [unrolled: 1-line block ×4, first 2 shown]
	s_and_saveexec_b64 s[2:3], vcc
	s_cbranch_execz .LBB0_21
; %bb.20:
	v_add_u32_e32 v0, 0x80, v5
	ds_read2st64_b32 v[0:1], v0 offset0:4 offset1:10
	ds_read_b32 v21, v5 offset:4224
.LBB0_21:
	s_or_b64 exec, exec, s[2:3]
	v_mul_f32_e32 v3, v10, v3
	v_fma_f32 v2, v17, v2, -v3
	v_sub_f32_e32 v2, v16, v2
	v_fma_f32 v3, v16, 2.0, -v2
	v_fma_f32 v10, v26, 2.0, -v20
	v_sub_f32_e32 v10, v3, v10
	v_fma_f32 v3, v3, 2.0, -v10
	v_sub_f32_e32 v16, v2, v19
	v_fma_f32 v17, v27, 2.0, -v29
	v_fma_f32 v2, v2, 2.0, -v16
	v_sub_f32_e32 v17, v3, v17
	v_fma_f32 v19, v3, 2.0, -v17
	v_sub_f32_e32 v3, v2, v32
	v_sub_f32_e32 v20, v3, v31
	v_add_f32_e32 v3, v16, v30
	v_sub_f32_e32 v3, v3, v25
	v_fma_f32 v26, v2, 2.0, -v20
	v_sub_f32_e32 v2, v10, v28
	v_fma_f32 v16, v16, 2.0, -v3
	v_fma_f32 v10, v10, 2.0, -v2
	s_waitcnt lgkmcnt(0)
	s_barrier
	ds_write2_b32 v11, v19, v26 offset1:12
	ds_write2_b32 v11, v10, v16 offset0:24 offset1:36
	ds_write2_b32 v11, v17, v20 offset0:48 offset1:60
	;; [unrolled: 1-line block ×3, first 2 shown]
	v_add_u32_e32 v16, 0xc00, v5
	s_waitcnt lgkmcnt(0)
	s_barrier
	ds_read2_b32 v[10:11], v5 offset1:144
	ds_read2_b32 v[18:19], v18 offset1:144
	;; [unrolled: 1-line block ×3, first 2 shown]
	s_and_saveexec_b64 s[2:3], vcc
	s_cbranch_execz .LBB0_23
; %bb.22:
	v_add_u32_e32 v2, 0x80, v5
	ds_read2st64_b32 v[2:3], v2 offset0:4 offset1:10
	ds_read_b32 v24, v5 offset:4224
.LBB0_23:
	s_or_b64 exec, exec, s[2:3]
	s_mov_b32 s2, 0xaaab
	v_mul_u32_u24_sdwa v20, v22, s2 dst_sel:DWORD dst_unused:UNUSED_PAD src0_sel:WORD_0 src1_sel:DWORD
	v_lshrrev_b32_e32 v37, 22, v20
	v_mul_lo_u16_e32 v20, 0x60, v37
	v_sub_u16_e32 v38, v22, v20
	v_lshlrev_b32_e32 v20, 4, v38
	global_load_dwordx4 v[25:28], v20, s[8:9] offset:736
	v_add_u32_e32 v20, 0xffffffa0, v4
	v_cndmask_b32_e32 v39, v20, v4, vcc
	v_mov_b32_e32 v30, 0
	v_lshlrev_b32_e32 v29, 1, v39
	v_lshlrev_b64 v[29:30], 3, v[29:30]
	v_mul_u32_u24_sdwa v20, v23, s2 dst_sel:DWORD dst_unused:UNUSED_PAD src0_sel:WORD_0 src1_sel:DWORD
	v_mov_b32_e32 v31, s9
	v_lshrrev_b32_e32 v20, 22, v20
	v_add_co_u32_e64 v29, s[2:3], s8, v29
	v_mul_lo_u16_e32 v20, 0x60, v20
	v_addc_co_u32_e64 v30, s[2:3], v31, v30, s[2:3]
	v_sub_u16_e32 v40, v23, v20
	global_load_dwordx4 v[29:32], v[29:30], off offset:736
	v_lshlrev_b32_e32 v33, 4, v40
	global_load_dwordx4 v[33:36], v33, s[8:9] offset:736
	s_movk_i32 s2, 0x5f
	v_cmp_lt_u32_e64 s[2:3], s2, v4
	s_waitcnt vmcnt(0) lgkmcnt(0)
	s_barrier
	v_mul_f32_e32 v23, v17, v28
	v_mul_f32_e32 v28, v13, v28
	;; [unrolled: 1-line block ×4, first 2 shown]
	v_fmac_f32_e32 v23, v13, v27
	v_fma_f32 v13, v17, v27, -v28
	v_mov_b32_e32 v17, 0x480
	v_fmac_f32_e32 v20, v15, v25
	v_fma_f32 v15, v19, v25, -v26
	v_cndmask_b32_e64 v17, 0, v17, s[2:3]
	v_lshlrev_b32_e32 v19, 2, v39
	v_add3_u32 v17, 0, v17, v19
	v_mul_u32_u24_e32 v19, 0x480, v37
	v_lshlrev_b32_e32 v25, 2, v38
	v_add3_u32 v25, 0, v19, v25
	v_mul_f32_e32 v26, v18, v30
	v_mul_f32_e32 v19, v14, v30
	v_fmac_f32_e32 v26, v14, v29
	v_mul_f32_e32 v14, v16, v32
	v_fma_f32 v27, v18, v29, -v19
	v_mul_f32_e32 v18, v24, v36
	v_fmac_f32_e32 v14, v12, v31
	v_mul_f32_e32 v28, v12, v32
	v_mul_f32_e32 v29, v21, v36
	;; [unrolled: 1-line block ×3, first 2 shown]
	v_fmac_f32_e32 v18, v21, v35
	v_add_f32_e32 v21, v26, v14
	v_mul_f32_e32 v30, v1, v34
	v_fma_f32 v12, v16, v31, -v28
	v_fma_f32 v16, v24, v35, -v29
	v_fmac_f32_e32 v19, v1, v33
	v_add_f32_e32 v1, v8, v26
	v_add_f32_e32 v28, v9, v20
	v_add_f32_e32 v29, v20, v23
	v_fma_f32 v8, -0.5, v21, v8
	v_sub_f32_e32 v24, v27, v12
	v_fmac_f32_e32 v9, -0.5, v29
	v_add_f32_e32 v21, v28, v23
	v_mov_b32_e32 v28, v8
	v_fma_f32 v3, v3, v33, -v30
	v_sub_f32_e32 v30, v15, v13
	v_add_f32_e32 v1, v1, v14
	v_fmac_f32_e32 v8, 0x3f5db3d7, v24
	v_mov_b32_e32 v29, v9
	v_fmac_f32_e32 v28, 0xbf5db3d7, v24
	v_fmac_f32_e32 v9, 0x3f5db3d7, v30
	ds_write_b32 v17, v8 offset:768
	v_fmac_f32_e32 v29, 0xbf5db3d7, v30
	ds_write2_b32 v17, v1, v28 offset1:96
	ds_write2_b32 v25, v21, v29 offset1:96
	ds_write_b32 v25, v9 offset:768
	v_lshl_add_u32 v21, v40, 2, 0
	s_and_saveexec_b64 s[2:3], vcc
	s_cbranch_execz .LBB0_25
; %bb.24:
	v_add_f32_e32 v1, v19, v18
	v_fma_f32 v1, -0.5, v1, v0
	v_sub_f32_e32 v8, v3, v16
	v_mov_b32_e32 v9, v1
	v_add_f32_e32 v0, v0, v19
	v_fmac_f32_e32 v9, 0x3f5db3d7, v8
	v_fmac_f32_e32 v1, 0xbf5db3d7, v8
	v_add_f32_e32 v0, v0, v18
	v_add_u32_e32 v8, 0xc00, v21
	ds_write2_b32 v8, v0, v1 offset0:96 offset1:192
	ds_write_b32 v21, v9 offset:4224
.LBB0_25:
	s_or_b64 exec, exec, s[2:3]
	v_add_f32_e32 v0, v10, v27
	v_add_f32_e32 v24, v0, v12
	;; [unrolled: 1-line block ×3, first 2 shown]
	v_fma_f32 v10, -0.5, v0, v10
	v_sub_f32_e32 v0, v26, v14
	v_mov_b32_e32 v26, v10
	v_fmac_f32_e32 v26, 0x3f5db3d7, v0
	v_fmac_f32_e32 v10, 0xbf5db3d7, v0
	v_add_f32_e32 v0, v11, v15
	v_add_f32_e32 v27, v0, v13
	;; [unrolled: 1-line block ×3, first 2 shown]
	v_fmac_f32_e32 v11, -0.5, v0
	v_add_u32_e32 v8, 0x400, v5
	v_sub_f32_e32 v0, v20, v23
	v_mov_b32_e32 v20, v11
	s_waitcnt lgkmcnt(0)
	s_barrier
	ds_read2_b32 v[12:13], v8 offset0:32 offset1:176
	v_add_u32_e32 v8, 0x800, v5
	v_add_u32_e32 v14, 0xc00, v5
	v_fmac_f32_e32 v20, 0x3f5db3d7, v0
	v_fmac_f32_e32 v11, 0xbf5db3d7, v0
	ds_read2_b32 v[0:1], v5 offset1:144
	ds_read2_b32 v[8:9], v8 offset0:64 offset1:208
	ds_read2_b32 v[14:15], v14 offset0:96 offset1:240
	s_waitcnt lgkmcnt(0)
	s_barrier
	ds_write2_b32 v17, v24, v26 offset1:96
	ds_write_b32 v17, v10 offset:768
	ds_write2_b32 v25, v27, v20 offset1:96
	ds_write_b32 v25, v11 offset:768
	s_and_saveexec_b64 s[2:3], vcc
	s_cbranch_execz .LBB0_27
; %bb.26:
	v_add_f32_e32 v10, v2, v3
	v_add_f32_e32 v3, v3, v16
	v_fmac_f32_e32 v2, -0.5, v3
	v_sub_f32_e32 v3, v19, v18
	v_mov_b32_e32 v11, v2
	v_add_f32_e32 v10, v10, v16
	v_fmac_f32_e32 v11, 0x3f5db3d7, v3
	v_fmac_f32_e32 v2, 0xbf5db3d7, v3
	v_add_u32_e32 v3, 0xc00, v21
	ds_write2_b32 v3, v10, v11 offset0:96 offset1:192
	ds_write_b32 v21, v2 offset:4224
.LBB0_27:
	s_or_b64 exec, exec, s[2:3]
	s_waitcnt lgkmcnt(0)
	s_barrier
	s_and_saveexec_b64 s[2:3], s[0:1]
	s_cbranch_execz .LBB0_29
; %bb.28:
	v_mul_u32_u24_e32 v2, 3, v22
	v_lshlrev_b32_e32 v2, 3, v2
	global_load_dwordx4 v[16:19], v2, s[8:9] offset:2272
	v_mul_u32_u24_e32 v10, 3, v4
	global_load_dwordx2 v[2:3], v2, s[8:9] offset:2288
	v_lshlrev_b32_e32 v20, 3, v10
	global_load_dwordx4 v[23:26], v20, s[8:9] offset:2272
	global_load_dwordx2 v[10:11], v20, s[8:9] offset:2288
	v_add_u32_e32 v27, 0x800, v5
	v_add_u32_e32 v29, 0x400, v5
	ds_read2_b32 v[27:28], v27 offset0:64 offset1:208
	ds_read2_b32 v[29:30], v29 offset0:32 offset1:176
	v_add_u32_e32 v31, 0xc00, v5
	ds_read2_b32 v[20:21], v5 offset1:144
	v_mov_b32_e32 v5, 0
	s_mov_b32 s1, 0x38e38e39
	s_movk_i32 s0, 0x1000
	s_waitcnt vmcnt(3)
	v_mul_f32_e32 v32, v9, v19
	v_mul_f32_e32 v33, v13, v16
	s_waitcnt lgkmcnt(2)
	v_mul_f32_e32 v19, v28, v19
	v_mul_f32_e32 v13, v13, v17
	v_fma_f32 v28, v28, v18, -v32
	s_waitcnt lgkmcnt(1)
	v_fmac_f32_e32 v33, v30, v17
	v_fmac_f32_e32 v19, v9, v18
	v_fma_f32 v9, v30, v16, -v13
	v_mov_b32_e32 v13, s13
	ds_read2_b32 v[16:17], v31 offset0:96 offset1:240
	v_add_co_u32_e32 v18, vcc, s12, v6
	v_addc_co_u32_e32 v13, vcc, v13, v7, vcc
	v_lshlrev_b64 v[6:7], 3, v[4:5]
	v_mul_hi_u32 v4, v22, s1
	v_add_co_u32_e32 v6, vcc, v18, v6
	v_addc_co_u32_e32 v7, vcc, v13, v7, vcc
	s_waitcnt vmcnt(2)
	v_mul_f32_e32 v13, v15, v2
	v_mul_f32_e32 v15, v15, v3
	s_waitcnt vmcnt(1)
	v_mul_f32_e32 v18, v8, v26
	s_waitcnt lgkmcnt(0)
	v_fmac_f32_e32 v13, v17, v3
	v_fma_f32 v2, v17, v2, -v15
	v_mul_f32_e32 v15, v12, v23
	s_waitcnt vmcnt(0)
	v_mul_f32_e32 v3, v14, v10
	v_mul_f32_e32 v12, v12, v24
	;; [unrolled: 1-line block ×4, first 2 shown]
	v_fma_f32 v18, v27, v25, -v18
	v_fmac_f32_e32 v15, v29, v24
	v_fmac_f32_e32 v3, v16, v11
	;; [unrolled: 1-line block ×3, first 2 shown]
	v_fma_f32 v11, v29, v23, -v12
	v_fma_f32 v8, v16, v10, -v14
	v_sub_f32_e32 v10, v21, v28
	v_sub_f32_e32 v12, v33, v13
	;; [unrolled: 1-line block ×9, first 2 shown]
	v_add_f32_e32 v2, v13, v14
	v_fma_f32 v21, v21, 2.0, -v10
	v_fma_f32 v14, v9, 2.0, -v14
	;; [unrolled: 1-line block ×4, first 2 shown]
	v_sub_f32_e32 v9, v16, v18
	v_add_f32_e32 v8, v17, v19
	v_fma_f32 v20, v20, 2.0, -v16
	v_fma_f32 v19, v11, 2.0, -v19
	;; [unrolled: 1-line block ×4, first 2 shown]
	v_lshrrev_b32_e32 v4, 6, v4
	v_fma_f32 v1, v10, 2.0, -v3
	v_fma_f32 v0, v13, 2.0, -v2
	v_sub_f32_e32 v11, v21, v14
	v_sub_f32_e32 v10, v22, v12
	v_fma_f32 v13, v16, 2.0, -v9
	v_fma_f32 v12, v17, 2.0, -v8
	v_sub_f32_e32 v15, v20, v19
	v_sub_f32_e32 v14, v23, v18
	v_mul_u32_u24_e32 v4, 0x360, v4
	v_fma_f32 v19, v20, 2.0, -v15
	v_fma_f32 v18, v23, 2.0, -v14
	global_store_dwordx2 v[6:7], v[12:13], off offset:2304
	global_store_dwordx2 v[6:7], v[18:19], off
	v_add_co_u32_e32 v12, vcc, s0, v6
	v_lshlrev_b64 v[4:5], 3, v[4:5]
	v_addc_co_u32_e32 v13, vcc, 0, v7, vcc
	v_add_co_u32_e32 v4, vcc, v6, v4
	v_fma_f32 v17, v21, 2.0, -v11
	v_fma_f32 v16, v22, 2.0, -v10
	v_addc_co_u32_e32 v5, vcc, v7, v5, vcc
	global_store_dwordx2 v[12:13], v[14:15], off offset:512
	global_store_dwordx2 v[12:13], v[8:9], off offset:2816
	;; [unrolled: 1-line block ×4, first 2 shown]
	v_add_co_u32_e32 v0, vcc, 0x1000, v4
	v_addc_co_u32_e32 v1, vcc, 0, v5, vcc
	global_store_dwordx2 v[0:1], v[10:11], off offset:1664
	global_store_dwordx2 v[0:1], v[2:3], off offset:3968
.LBB0_29:
	s_endpgm
	.section	.rodata,"a",@progbits
	.p2align	6, 0x0
	.amdhsa_kernel fft_rtc_back_len1152_factors_4_3_8_3_4_wgs_144_tpt_144_halfLds_sp_ip_CI_unitstride_sbrr_dirReg
		.amdhsa_group_segment_fixed_size 0
		.amdhsa_private_segment_fixed_size 0
		.amdhsa_kernarg_size 88
		.amdhsa_user_sgpr_count 6
		.amdhsa_user_sgpr_private_segment_buffer 1
		.amdhsa_user_sgpr_dispatch_ptr 0
		.amdhsa_user_sgpr_queue_ptr 0
		.amdhsa_user_sgpr_kernarg_segment_ptr 1
		.amdhsa_user_sgpr_dispatch_id 0
		.amdhsa_user_sgpr_flat_scratch_init 0
		.amdhsa_user_sgpr_private_segment_size 0
		.amdhsa_uses_dynamic_stack 0
		.amdhsa_system_sgpr_private_segment_wavefront_offset 0
		.amdhsa_system_sgpr_workgroup_id_x 1
		.amdhsa_system_sgpr_workgroup_id_y 0
		.amdhsa_system_sgpr_workgroup_id_z 0
		.amdhsa_system_sgpr_workgroup_info 0
		.amdhsa_system_vgpr_workitem_id 0
		.amdhsa_next_free_vgpr 41
		.amdhsa_next_free_sgpr 22
		.amdhsa_reserve_vcc 1
		.amdhsa_reserve_flat_scratch 0
		.amdhsa_float_round_mode_32 0
		.amdhsa_float_round_mode_16_64 0
		.amdhsa_float_denorm_mode_32 3
		.amdhsa_float_denorm_mode_16_64 3
		.amdhsa_dx10_clamp 1
		.amdhsa_ieee_mode 1
		.amdhsa_fp16_overflow 0
		.amdhsa_exception_fp_ieee_invalid_op 0
		.amdhsa_exception_fp_denorm_src 0
		.amdhsa_exception_fp_ieee_div_zero 0
		.amdhsa_exception_fp_ieee_overflow 0
		.amdhsa_exception_fp_ieee_underflow 0
		.amdhsa_exception_fp_ieee_inexact 0
		.amdhsa_exception_int_div_zero 0
	.end_amdhsa_kernel
	.text
.Lfunc_end0:
	.size	fft_rtc_back_len1152_factors_4_3_8_3_4_wgs_144_tpt_144_halfLds_sp_ip_CI_unitstride_sbrr_dirReg, .Lfunc_end0-fft_rtc_back_len1152_factors_4_3_8_3_4_wgs_144_tpt_144_halfLds_sp_ip_CI_unitstride_sbrr_dirReg
                                        ; -- End function
	.section	.AMDGPU.csdata,"",@progbits
; Kernel info:
; codeLenInByte = 4724
; NumSgprs: 26
; NumVgprs: 41
; ScratchSize: 0
; MemoryBound: 0
; FloatMode: 240
; IeeeMode: 1
; LDSByteSize: 0 bytes/workgroup (compile time only)
; SGPRBlocks: 3
; VGPRBlocks: 10
; NumSGPRsForWavesPerEU: 26
; NumVGPRsForWavesPerEU: 41
; Occupancy: 5
; WaveLimiterHint : 1
; COMPUTE_PGM_RSRC2:SCRATCH_EN: 0
; COMPUTE_PGM_RSRC2:USER_SGPR: 6
; COMPUTE_PGM_RSRC2:TRAP_HANDLER: 0
; COMPUTE_PGM_RSRC2:TGID_X_EN: 1
; COMPUTE_PGM_RSRC2:TGID_Y_EN: 0
; COMPUTE_PGM_RSRC2:TGID_Z_EN: 0
; COMPUTE_PGM_RSRC2:TIDIG_COMP_CNT: 0
	.type	__hip_cuid_bb586ff92ac5a9f7,@object ; @__hip_cuid_bb586ff92ac5a9f7
	.section	.bss,"aw",@nobits
	.globl	__hip_cuid_bb586ff92ac5a9f7
__hip_cuid_bb586ff92ac5a9f7:
	.byte	0                               ; 0x0
	.size	__hip_cuid_bb586ff92ac5a9f7, 1

	.ident	"AMD clang version 19.0.0git (https://github.com/RadeonOpenCompute/llvm-project roc-6.4.0 25133 c7fe45cf4b819c5991fe208aaa96edf142730f1d)"
	.section	".note.GNU-stack","",@progbits
	.addrsig
	.addrsig_sym __hip_cuid_bb586ff92ac5a9f7
	.amdgpu_metadata
---
amdhsa.kernels:
  - .args:
      - .actual_access:  read_only
        .address_space:  global
        .offset:         0
        .size:           8
        .value_kind:     global_buffer
      - .offset:         8
        .size:           8
        .value_kind:     by_value
      - .actual_access:  read_only
        .address_space:  global
        .offset:         16
        .size:           8
        .value_kind:     global_buffer
      - .actual_access:  read_only
        .address_space:  global
        .offset:         24
        .size:           8
        .value_kind:     global_buffer
      - .offset:         32
        .size:           8
        .value_kind:     by_value
      - .actual_access:  read_only
        .address_space:  global
        .offset:         40
        .size:           8
        .value_kind:     global_buffer
      - .actual_access:  read_only
        .address_space:  global
        .offset:         48
        .size:           8
        .value_kind:     global_buffer
      - .offset:         56
        .size:           4
        .value_kind:     by_value
      - .actual_access:  read_only
        .address_space:  global
        .offset:         64
        .size:           8
        .value_kind:     global_buffer
      - .actual_access:  read_only
        .address_space:  global
        .offset:         72
        .size:           8
        .value_kind:     global_buffer
      - .address_space:  global
        .offset:         80
        .size:           8
        .value_kind:     global_buffer
    .group_segment_fixed_size: 0
    .kernarg_segment_align: 8
    .kernarg_segment_size: 88
    .language:       OpenCL C
    .language_version:
      - 2
      - 0
    .max_flat_workgroup_size: 144
    .name:           fft_rtc_back_len1152_factors_4_3_8_3_4_wgs_144_tpt_144_halfLds_sp_ip_CI_unitstride_sbrr_dirReg
    .private_segment_fixed_size: 0
    .sgpr_count:     26
    .sgpr_spill_count: 0
    .symbol:         fft_rtc_back_len1152_factors_4_3_8_3_4_wgs_144_tpt_144_halfLds_sp_ip_CI_unitstride_sbrr_dirReg.kd
    .uniform_work_group_size: 1
    .uses_dynamic_stack: false
    .vgpr_count:     41
    .vgpr_spill_count: 0
    .wavefront_size: 64
amdhsa.target:   amdgcn-amd-amdhsa--gfx906
amdhsa.version:
  - 1
  - 2
...

	.end_amdgpu_metadata
